;; amdgpu-corpus repo=ROCm/rocFFT kind=compiled arch=gfx906 opt=O3
	.text
	.amdgcn_target "amdgcn-amd-amdhsa--gfx906"
	.amdhsa_code_object_version 6
	.protected	fft_rtc_back_len121_factors_11_11_wgs_121_tpt_11_halfLds_sp_ip_CI_sbrr_dirReg ; -- Begin function fft_rtc_back_len121_factors_11_11_wgs_121_tpt_11_halfLds_sp_ip_CI_sbrr_dirReg
	.globl	fft_rtc_back_len121_factors_11_11_wgs_121_tpt_11_halfLds_sp_ip_CI_sbrr_dirReg
	.p2align	8
	.type	fft_rtc_back_len121_factors_11_11_wgs_121_tpt_11_halfLds_sp_ip_CI_sbrr_dirReg,@function
fft_rtc_back_len121_factors_11_11_wgs_121_tpt_11_halfLds_sp_ip_CI_sbrr_dirReg: ; @fft_rtc_back_len121_factors_11_11_wgs_121_tpt_11_halfLds_sp_ip_CI_sbrr_dirReg
; %bb.0:
	s_load_dwordx2 s[14:15], s[4:5], 0x18
	s_load_dwordx4 s[8:11], s[4:5], 0x0
	s_load_dwordx2 s[12:13], s[4:5], 0x50
	v_mul_u32_u24_e32 v1, 0x1746, v0
	v_lshrrev_b32_e32 v1, 16, v1
	s_waitcnt lgkmcnt(0)
	s_load_dwordx2 s[2:3], s[14:15], 0x0
	v_mad_u64_u32 v[2:3], s[0:1], s6, 11, v[1:2]
	v_mov_b32_e32 v6, 0
	v_cmp_lt_u64_e64 s[0:1], s[10:11], 2
	v_mov_b32_e32 v3, v6
	v_mov_b32_e32 v4, 0
	;; [unrolled: 1-line block ×3, first 2 shown]
	s_and_b64 vcc, exec, s[0:1]
	v_mov_b32_e32 v5, 0
	v_mov_b32_e32 v10, v2
	s_cbranch_vccnz .LBB0_8
; %bb.1:
	s_load_dwordx2 s[0:1], s[4:5], 0x10
	s_add_u32 s6, s14, 8
	s_addc_u32 s7, s15, 0
	v_mov_b32_e32 v4, 0
	v_mov_b32_e32 v9, v3
	s_waitcnt lgkmcnt(0)
	s_add_u32 s18, s0, 8
	s_mov_b64 s[16:17], 1
	v_mov_b32_e32 v5, 0
	s_addc_u32 s19, s1, 0
	v_mov_b32_e32 v8, v2
.LBB0_2:                                ; =>This Inner Loop Header: Depth=1
	s_load_dwordx2 s[20:21], s[18:19], 0x0
                                        ; implicit-def: $vgpr10_vgpr11
	s_waitcnt lgkmcnt(0)
	v_or_b32_e32 v7, s21, v9
	v_cmp_ne_u64_e32 vcc, 0, v[6:7]
	s_and_saveexec_b64 s[0:1], vcc
	s_xor_b64 s[22:23], exec, s[0:1]
	s_cbranch_execz .LBB0_4
; %bb.3:                                ;   in Loop: Header=BB0_2 Depth=1
	v_cvt_f32_u32_e32 v1, s20
	v_cvt_f32_u32_e32 v3, s21
	s_sub_u32 s0, 0, s20
	s_subb_u32 s1, 0, s21
	v_mac_f32_e32 v1, 0x4f800000, v3
	v_rcp_f32_e32 v1, v1
	v_mul_f32_e32 v1, 0x5f7ffffc, v1
	v_mul_f32_e32 v3, 0x2f800000, v1
	v_trunc_f32_e32 v3, v3
	v_mac_f32_e32 v1, 0xcf800000, v3
	v_cvt_u32_f32_e32 v3, v3
	v_cvt_u32_f32_e32 v1, v1
	v_mul_lo_u32 v7, s0, v3
	v_mul_hi_u32 v10, s0, v1
	v_mul_lo_u32 v12, s1, v1
	v_mul_lo_u32 v11, s0, v1
	v_add_u32_e32 v7, v10, v7
	v_add_u32_e32 v7, v7, v12
	v_mul_hi_u32 v10, v1, v11
	v_mul_lo_u32 v12, v1, v7
	v_mul_hi_u32 v14, v1, v7
	v_mul_hi_u32 v13, v3, v11
	v_mul_lo_u32 v11, v3, v11
	v_mul_hi_u32 v15, v3, v7
	v_add_co_u32_e32 v10, vcc, v10, v12
	v_addc_co_u32_e32 v12, vcc, 0, v14, vcc
	v_mul_lo_u32 v7, v3, v7
	v_add_co_u32_e32 v10, vcc, v10, v11
	v_addc_co_u32_e32 v10, vcc, v12, v13, vcc
	v_addc_co_u32_e32 v11, vcc, 0, v15, vcc
	v_add_co_u32_e32 v7, vcc, v10, v7
	v_addc_co_u32_e32 v10, vcc, 0, v11, vcc
	v_add_co_u32_e32 v1, vcc, v1, v7
	v_addc_co_u32_e32 v3, vcc, v3, v10, vcc
	v_mul_lo_u32 v7, s0, v3
	v_mul_hi_u32 v10, s0, v1
	v_mul_lo_u32 v11, s1, v1
	v_mul_lo_u32 v12, s0, v1
	v_add_u32_e32 v7, v10, v7
	v_add_u32_e32 v7, v7, v11
	v_mul_lo_u32 v13, v1, v7
	v_mul_hi_u32 v14, v1, v12
	v_mul_hi_u32 v15, v1, v7
	;; [unrolled: 1-line block ×3, first 2 shown]
	v_mul_lo_u32 v12, v3, v12
	v_mul_hi_u32 v10, v3, v7
	v_add_co_u32_e32 v13, vcc, v14, v13
	v_addc_co_u32_e32 v14, vcc, 0, v15, vcc
	v_mul_lo_u32 v7, v3, v7
	v_add_co_u32_e32 v12, vcc, v13, v12
	v_addc_co_u32_e32 v11, vcc, v14, v11, vcc
	v_addc_co_u32_e32 v10, vcc, 0, v10, vcc
	v_add_co_u32_e32 v7, vcc, v11, v7
	v_addc_co_u32_e32 v10, vcc, 0, v10, vcc
	v_add_co_u32_e32 v1, vcc, v1, v7
	v_addc_co_u32_e32 v3, vcc, v3, v10, vcc
	v_mad_u64_u32 v[10:11], s[0:1], v8, v3, 0
	v_mul_hi_u32 v7, v8, v1
	v_mad_u64_u32 v[12:13], s[0:1], v9, v3, 0
	v_add_co_u32_e32 v7, vcc, v7, v10
	v_addc_co_u32_e32 v14, vcc, 0, v11, vcc
	v_mad_u64_u32 v[10:11], s[0:1], v9, v1, 0
	v_add_co_u32_e32 v1, vcc, v7, v10
	v_addc_co_u32_e32 v1, vcc, v14, v11, vcc
	v_addc_co_u32_e32 v3, vcc, 0, v13, vcc
	v_add_co_u32_e32 v1, vcc, v1, v12
	v_addc_co_u32_e32 v3, vcc, 0, v3, vcc
	v_mul_lo_u32 v7, s21, v1
	v_mul_lo_u32 v12, s20, v3
	v_mad_u64_u32 v[10:11], s[0:1], s20, v1, 0
	v_add3_u32 v7, v11, v12, v7
	v_sub_u32_e32 v11, v9, v7
	v_mov_b32_e32 v12, s21
	v_sub_co_u32_e32 v10, vcc, v8, v10
	v_subb_co_u32_e64 v11, s[0:1], v11, v12, vcc
	v_subrev_co_u32_e64 v12, s[0:1], s20, v10
	v_subbrev_co_u32_e64 v11, s[0:1], 0, v11, s[0:1]
	v_cmp_le_u32_e64 s[0:1], s21, v11
	v_cndmask_b32_e64 v13, 0, -1, s[0:1]
	v_cmp_le_u32_e64 s[0:1], s20, v12
	v_cndmask_b32_e64 v12, 0, -1, s[0:1]
	v_cmp_eq_u32_e64 s[0:1], s21, v11
	v_cndmask_b32_e64 v11, v13, v12, s[0:1]
	v_add_co_u32_e64 v12, s[0:1], 2, v1
	v_addc_co_u32_e64 v13, s[0:1], 0, v3, s[0:1]
	v_add_co_u32_e64 v14, s[0:1], 1, v1
	v_addc_co_u32_e64 v15, s[0:1], 0, v3, s[0:1]
	v_subb_co_u32_e32 v7, vcc, v9, v7, vcc
	v_cmp_ne_u32_e64 s[0:1], 0, v11
	v_cmp_le_u32_e32 vcc, s21, v7
	v_cndmask_b32_e64 v11, v15, v13, s[0:1]
	v_cndmask_b32_e64 v13, 0, -1, vcc
	v_cmp_le_u32_e32 vcc, s20, v10
	v_cndmask_b32_e64 v10, 0, -1, vcc
	v_cmp_eq_u32_e32 vcc, s21, v7
	v_cndmask_b32_e32 v7, v13, v10, vcc
	v_cmp_ne_u32_e32 vcc, 0, v7
	v_cndmask_b32_e32 v11, v3, v11, vcc
	v_cndmask_b32_e64 v3, v14, v12, s[0:1]
	v_cndmask_b32_e32 v10, v1, v3, vcc
.LBB0_4:                                ;   in Loop: Header=BB0_2 Depth=1
	s_andn2_saveexec_b64 s[0:1], s[22:23]
	s_cbranch_execz .LBB0_6
; %bb.5:                                ;   in Loop: Header=BB0_2 Depth=1
	v_cvt_f32_u32_e32 v1, s20
	s_sub_i32 s22, 0, s20
	v_mov_b32_e32 v11, v6
	v_rcp_iflag_f32_e32 v1, v1
	v_mul_f32_e32 v1, 0x4f7ffffe, v1
	v_cvt_u32_f32_e32 v1, v1
	v_mul_lo_u32 v3, s22, v1
	v_mul_hi_u32 v3, v1, v3
	v_add_u32_e32 v1, v1, v3
	v_mul_hi_u32 v1, v8, v1
	v_mul_lo_u32 v3, v1, s20
	v_add_u32_e32 v7, 1, v1
	v_sub_u32_e32 v3, v8, v3
	v_subrev_u32_e32 v10, s20, v3
	v_cmp_le_u32_e32 vcc, s20, v3
	v_cndmask_b32_e32 v3, v3, v10, vcc
	v_cndmask_b32_e32 v1, v1, v7, vcc
	v_add_u32_e32 v7, 1, v1
	v_cmp_le_u32_e32 vcc, s20, v3
	v_cndmask_b32_e32 v10, v1, v7, vcc
.LBB0_6:                                ;   in Loop: Header=BB0_2 Depth=1
	s_or_b64 exec, exec, s[0:1]
	v_mul_lo_u32 v1, v11, s20
	v_mul_lo_u32 v3, v10, s21
	v_mad_u64_u32 v[12:13], s[0:1], v10, s20, 0
	s_load_dwordx2 s[0:1], s[6:7], 0x0
	s_add_u32 s16, s16, 1
	v_add3_u32 v1, v13, v3, v1
	v_sub_co_u32_e32 v3, vcc, v8, v12
	v_subb_co_u32_e32 v1, vcc, v9, v1, vcc
	s_waitcnt lgkmcnt(0)
	v_mul_lo_u32 v1, s0, v1
	v_mul_lo_u32 v7, s1, v3
	v_mad_u64_u32 v[4:5], s[0:1], s0, v3, v[4:5]
	s_addc_u32 s17, s17, 0
	s_add_u32 s6, s6, 8
	v_add3_u32 v5, v7, v5, v1
	v_mov_b32_e32 v7, s10
	v_mov_b32_e32 v8, s11
	s_addc_u32 s7, s7, 0
	v_cmp_ge_u64_e32 vcc, s[16:17], v[7:8]
	s_add_u32 s18, s18, 8
	s_addc_u32 s19, s19, 0
	s_cbranch_vccnz .LBB0_8
; %bb.7:                                ;   in Loop: Header=BB0_2 Depth=1
	v_mov_b32_e32 v8, v10
	v_mov_b32_e32 v9, v11
	s_branch .LBB0_2
.LBB0_8:
	s_lshl_b64 s[0:1], s[10:11], 3
	s_add_u32 s0, s14, s0
	s_addc_u32 s1, s15, s1
	s_load_dwordx2 s[6:7], s[0:1], 0x0
	s_load_dwordx2 s[10:11], s[4:5], 0x20
	v_mov_b32_e32 v25, 0
                                        ; implicit-def: $vgpr8
                                        ; implicit-def: $vgpr12
                                        ; implicit-def: $vgpr18
                                        ; implicit-def: $vgpr14
                                        ; implicit-def: $vgpr16
                                        ; implicit-def: $vgpr22
                                        ; implicit-def: $vgpr20
                                        ; implicit-def: $vgpr24
	s_waitcnt lgkmcnt(0)
	v_mad_u64_u32 v[5:6], s[0:1], s6, v10, v[4:5]
	s_mov_b32 s0, 0x1745d175
	v_mul_lo_u32 v1, s6, v11
	v_mul_lo_u32 v3, s7, v10
	v_mul_hi_u32 v4, v0, s0
	v_cmp_gt_u64_e32 vcc, s[10:11], v[10:11]
                                        ; implicit-def: $vgpr10
	v_add3_u32 v6, v3, v6, v1
	v_mul_u32_u24_e32 v1, 11, v4
	v_sub_u32_e32 v26, v0, v1
	v_mov_b32_e32 v3, 0
	v_lshlrev_b64 v[0:1], 3, v[5:6]
	v_mov_b32_e32 v4, 0
                                        ; implicit-def: $vgpr6
	s_and_saveexec_b64 s[4:5], vcc
	s_cbranch_execz .LBB0_10
; %bb.9:
	v_mad_u64_u32 v[3:4], s[0:1], s2, v26, 0
	v_add_u32_e32 v8, 11, v26
	v_mov_b32_e32 v7, s13
	v_mad_u64_u32 v[4:5], s[0:1], s3, v26, v[4:5]
	v_mad_u64_u32 v[5:6], s[0:1], s2, v8, 0
	v_add_co_u32_e64 v25, s[0:1], s12, v0
	v_addc_co_u32_e64 v43, s[0:1], v7, v1, s[0:1]
	v_mad_u64_u32 v[6:7], s[0:1], s3, v8, v[6:7]
	v_add_u32_e32 v9, 22, v26
	v_mad_u64_u32 v[7:8], s[0:1], s2, v9, 0
	v_lshlrev_b64 v[3:4], 3, v[3:4]
	v_add_co_u32_e64 v13, s[0:1], v25, v3
	v_addc_co_u32_e64 v14, s[0:1], v43, v4, s[0:1]
	v_lshlrev_b64 v[3:4], 3, v[5:6]
	v_mov_b32_e32 v5, v8
	v_mad_u64_u32 v[5:6], s[0:1], s3, v9, v[5:6]
	v_add_u32_e32 v6, 33, v26
	v_mad_u64_u32 v[9:10], s[0:1], s2, v6, 0
	v_add_co_u32_e64 v15, s[0:1], v25, v3
	v_mov_b32_e32 v8, v5
	v_mov_b32_e32 v5, v10
	v_addc_co_u32_e64 v16, s[0:1], v43, v4, s[0:1]
	v_lshlrev_b64 v[3:4], 3, v[7:8]
	v_mad_u64_u32 v[5:6], s[0:1], s3, v6, v[5:6]
	v_add_u32_e32 v8, 44, v26
	v_mad_u64_u32 v[6:7], s[0:1], s2, v8, 0
	v_add_co_u32_e64 v21, s[0:1], v25, v3
	v_mov_b32_e32 v10, v5
	v_mov_b32_e32 v5, v7
	v_addc_co_u32_e64 v22, s[0:1], v43, v4, s[0:1]
	v_lshlrev_b64 v[3:4], 3, v[9:10]
	v_mad_u64_u32 v[7:8], s[0:1], s3, v8, v[5:6]
	v_add_u32_e32 v10, 55, v26
	v_mad_u64_u32 v[8:9], s[0:1], s2, v10, 0
	v_add_co_u32_e64 v27, s[0:1], v25, v3
	v_mov_b32_e32 v5, v9
	v_addc_co_u32_e64 v28, s[0:1], v43, v4, s[0:1]
	v_lshlrev_b64 v[3:4], 3, v[6:7]
	v_mad_u64_u32 v[5:6], s[0:1], s3, v10, v[5:6]
	v_add_u32_e32 v10, 0x42, v26
	v_mad_u64_u32 v[6:7], s[0:1], s2, v10, 0
	v_add_co_u32_e64 v29, s[0:1], v25, v3
	v_mov_b32_e32 v9, v5
	v_mov_b32_e32 v5, v7
	v_addc_co_u32_e64 v30, s[0:1], v43, v4, s[0:1]
	v_lshlrev_b64 v[3:4], 3, v[8:9]
	v_mad_u64_u32 v[7:8], s[0:1], s3, v10, v[5:6]
	v_add_u32_e32 v10, 0x4d, v26
	v_mad_u64_u32 v[8:9], s[0:1], s2, v10, 0
	v_add_co_u32_e64 v31, s[0:1], v25, v3
	;; [unrolled: 15-line block ×3, first 2 shown]
	v_mov_b32_e32 v5, v9
	v_addc_co_u32_e64 v36, s[0:1], v43, v4, s[0:1]
	v_lshlrev_b64 v[3:4], 3, v[6:7]
	v_mad_u64_u32 v[5:6], s[0:1], s3, v10, v[5:6]
	v_add_u32_e32 v6, 0x6e, v26
	v_mad_u64_u32 v[37:38], s[0:1], s2, v6, 0
	v_add_co_u32_e64 v39, s[0:1], v25, v3
	v_mov_b32_e32 v9, v5
	v_mov_b32_e32 v5, v38
	v_addc_co_u32_e64 v40, s[0:1], v43, v4, s[0:1]
	v_mad_u64_u32 v[5:6], s[0:1], s3, v6, v[5:6]
	v_lshlrev_b64 v[3:4], 3, v[8:9]
	v_add_co_u32_e64 v41, s[0:1], v25, v3
	v_addc_co_u32_e64 v42, s[0:1], v43, v4, s[0:1]
	v_mov_b32_e32 v38, v5
	global_load_dwordx2 v[3:4], v[13:14], off
	global_load_dwordx2 v[5:6], v[15:16], off
	;; [unrolled: 1-line block ×8, first 2 shown]
	v_lshlrev_b64 v[13:14], 3, v[37:38]
	v_add_co_u32_e64 v27, s[0:1], v25, v13
	v_addc_co_u32_e64 v28, s[0:1], v43, v14, s[0:1]
	global_load_dwordx2 v[21:22], v[39:40], off
	global_load_dwordx2 v[15:16], v[41:42], off
	;; [unrolled: 1-line block ×3, first 2 shown]
	v_mov_b32_e32 v25, v26
.LBB0_10:
	s_or_b64 exec, exec, s[4:5]
	s_mov_b32 s0, 0xba2e8ba3
	v_mul_hi_u32 v27, v2, s0
	s_waitcnt vmcnt(9)
	v_add_f32_e32 v28, v5, v3
	v_add_f32_e32 v29, v6, v4
	s_waitcnt vmcnt(8)
	v_add_f32_e32 v28, v7, v28
	v_lshrrev_b32_e32 v27, 3, v27
	v_mul_lo_u32 v27, v27, 11
	v_add_f32_e32 v29, v8, v29
	s_waitcnt vmcnt(7)
	v_add_f32_e32 v28, v9, v28
	v_add_f32_e32 v29, v10, v29
	v_sub_u32_e32 v2, v2, v27
	s_waitcnt vmcnt(6)
	v_add_f32_e32 v27, v11, v28
	v_add_f32_e32 v28, v12, v29
	s_waitcnt vmcnt(5)
	v_add_f32_e32 v27, v17, v27
	v_add_f32_e32 v28, v18, v28
	;; [unrolled: 3-line block ×3, first 2 shown]
	v_sub_f32_e32 v17, v17, v23
	v_sub_f32_e32 v18, v18, v24
	v_add_f32_e32 v23, v23, v27
	v_add_f32_e32 v24, v24, v28
	s_waitcnt vmcnt(3)
	v_add_f32_e32 v27, v11, v19
	v_add_f32_e32 v28, v12, v20
	v_sub_f32_e32 v11, v11, v19
	v_sub_f32_e32 v12, v12, v20
	v_add_f32_e32 v19, v19, v23
	v_add_f32_e32 v20, v20, v24
	s_waitcnt vmcnt(2)
	v_add_f32_e32 v19, v21, v19
	v_add_f32_e32 v20, v22, v20
	;; [unrolled: 1-line block ×4, first 2 shown]
	v_sub_f32_e32 v9, v9, v21
	v_sub_f32_e32 v10, v10, v22
	s_waitcnt vmcnt(1)
	v_add_f32_e32 v21, v7, v15
	v_add_f32_e32 v22, v8, v16
	v_sub_f32_e32 v7, v7, v15
	v_sub_f32_e32 v8, v8, v16
	v_add_f32_e32 v15, v15, v19
	v_add_f32_e32 v16, v16, v20
	s_waitcnt vmcnt(0)
	v_add_f32_e32 v20, v6, v14
	v_sub_f32_e32 v6, v6, v14
	v_add_f32_e32 v19, v5, v13
	v_sub_f32_e32 v5, v5, v13
	v_add_f32_e32 v13, v13, v15
	v_add_f32_e32 v15, v14, v16
	v_mul_f32_e32 v14, 0xbf0a6770, v6
	v_mul_f32_e32 v31, 0xbf68dda4, v6
	;; [unrolled: 1-line block ×5, first 2 shown]
	s_mov_b32 s1, 0x3f575c64
	v_mov_b32_e32 v16, v14
	s_mov_b32 s5, 0x3ed4b147
	v_mov_b32_e32 v32, v31
	;; [unrolled: 2-line block ×5, first 2 shown]
	v_fmac_f32_e32 v16, 0x3f575c64, v19
	v_fma_f32 v14, v19, s1, -v14
	v_fmac_f32_e32 v32, 0x3ed4b147, v19
	v_fma_f32 v31, v19, s5, -v31
	;; [unrolled: 2-line block ×5, first 2 shown]
	v_mul_f32_e32 v19, 0xbf0a6770, v5
	v_mul_f32_e32 v39, 0xbf68dda4, v5
	;; [unrolled: 1-line block ×5, first 2 shown]
	v_fma_f32 v38, v20, s1, -v19
	v_fmac_f32_e32 v19, 0x3f575c64, v20
	v_fma_f32 v40, v20, s5, -v39
	v_fmac_f32_e32 v39, 0x3ed4b147, v20
	;; [unrolled: 2-line block ×5, first 2 shown]
	v_add_f32_e32 v20, v38, v4
	v_add_f32_e32 v19, v19, v4
	;; [unrolled: 1-line block ×10, first 2 shown]
	v_mul_f32_e32 v5, 0xbf68dda4, v8
	v_add_f32_e32 v16, v16, v3
	v_add_f32_e32 v14, v14, v3
	;; [unrolled: 1-line block ×10, first 2 shown]
	v_mov_b32_e32 v6, v5
	v_fmac_f32_e32 v6, 0x3ed4b147, v21
	v_add_f32_e32 v6, v6, v16
	v_mul_f32_e32 v16, 0xbf68dda4, v7
	v_fma_f32 v45, v22, s5, -v16
	v_fma_f32 v5, v21, s5, -v5
	v_fmac_f32_e32 v16, 0x3ed4b147, v22
	v_add_f32_e32 v5, v5, v14
	v_add_f32_e32 v14, v16, v19
	v_mul_f32_e32 v16, 0xbf4178ce, v8
	v_mov_b32_e32 v19, v16
	v_fmac_f32_e32 v19, 0xbf27a4f4, v21
	v_add_f32_e32 v19, v19, v32
	v_mul_f32_e32 v32, 0xbf4178ce, v7
	v_add_f32_e32 v20, v45, v20
	v_fma_f32 v45, v22, s4, -v32
	v_fma_f32 v16, v21, s4, -v16
	v_fmac_f32_e32 v32, 0xbf27a4f4, v22
	v_add_f32_e32 v16, v16, v31
	v_add_f32_e32 v31, v32, v39
	v_mul_f32_e32 v32, 0x3e903f40, v8
	v_mov_b32_e32 v39, v32
	v_fmac_f32_e32 v39, 0xbf75a155, v21
	v_add_f32_e32 v34, v39, v34
	v_mul_f32_e32 v39, 0x3e903f40, v7
	v_add_f32_e32 v38, v45, v38
	;; [unrolled: 11-line block ×3, first 2 shown]
	v_fma_f32 v45, v22, s0, -v41
	v_fma_f32 v39, v21, s0, -v39
	v_fmac_f32_e32 v41, 0xbe11bafb, v22
	v_mul_f32_e32 v8, 0x3f0a6770, v8
	v_add_f32_e32 v35, v39, v35
	v_add_f32_e32 v39, v41, v43
	v_mov_b32_e32 v41, v8
	v_fmac_f32_e32 v41, 0x3f575c64, v21
	v_mul_f32_e32 v7, 0x3f0a6770, v7
	v_add_f32_e32 v37, v41, v37
	v_fma_f32 v41, v22, s1, -v7
	v_fmac_f32_e32 v7, 0x3f575c64, v22
	v_fma_f32 v8, v21, s1, -v8
	v_add_f32_e32 v4, v7, v4
	v_mul_f32_e32 v7, 0xbf7d64f0, v10
	v_add_f32_e32 v3, v8, v3
	v_mov_b32_e32 v8, v7
	v_fmac_f32_e32 v8, 0xbe11bafb, v23
	v_add_f32_e32 v6, v8, v6
	v_mul_f32_e32 v8, 0xbf7d64f0, v9
	v_fma_f32 v21, v24, s0, -v8
	v_fma_f32 v7, v23, s0, -v7
	v_fmac_f32_e32 v8, 0xbe11bafb, v24
	v_add_f32_e32 v5, v7, v5
	v_add_f32_e32 v7, v8, v14
	v_mul_f32_e32 v8, 0x3e903f40, v10
	v_mov_b32_e32 v14, v8
	v_fmac_f32_e32 v14, 0xbf75a155, v23
	v_add_f32_e32 v14, v14, v19
	v_mul_f32_e32 v19, 0x3e903f40, v9
	v_add_f32_e32 v20, v21, v20
	v_fma_f32 v21, v24, s6, -v19
	v_fma_f32 v8, v23, s6, -v8
	v_fmac_f32_e32 v19, 0xbf75a155, v24
	v_add_f32_e32 v8, v8, v16
	v_add_f32_e32 v16, v19, v31
	v_mul_f32_e32 v19, 0x3f68dda4, v10
	v_mov_b32_e32 v22, v19
	v_fmac_f32_e32 v22, 0x3ed4b147, v23
	v_mul_f32_e32 v31, 0x3f68dda4, v9
	v_fma_f32 v19, v23, s5, -v19
	v_add_f32_e32 v22, v22, v34
	v_fma_f32 v34, v24, s5, -v31
	v_add_f32_e32 v19, v19, v32
	v_fmac_f32_e32 v31, 0x3ed4b147, v24
	v_mul_f32_e32 v32, 0xbf0a6770, v10
	v_add_f32_e32 v31, v31, v33
	v_mov_b32_e32 v33, v32
	v_fmac_f32_e32 v33, 0x3f575c64, v23
	v_add_f32_e32 v33, v33, v36
	v_mul_f32_e32 v36, 0xbf0a6770, v9
	v_add_f32_e32 v21, v21, v38
	v_fma_f32 v38, v24, s1, -v36
	v_fma_f32 v32, v23, s1, -v32
	v_fmac_f32_e32 v36, 0x3f575c64, v24
	v_mul_f32_e32 v10, 0xbf4178ce, v10
	v_add_f32_e32 v32, v32, v35
	v_add_f32_e32 v35, v36, v39
	v_mov_b32_e32 v36, v10
	v_fmac_f32_e32 v36, 0xbf27a4f4, v23
	v_mul_f32_e32 v9, 0xbf4178ce, v9
	v_add_f32_e32 v36, v36, v37
	v_fma_f32 v37, v24, s4, -v9
	v_fmac_f32_e32 v9, 0xbf27a4f4, v24
	v_fma_f32 v10, v23, s4, -v10
	v_add_f32_e32 v4, v9, v4
	v_mul_f32_e32 v9, 0xbf4178ce, v12
	v_add_f32_e32 v3, v10, v3
	v_mov_b32_e32 v10, v9
	v_fmac_f32_e32 v10, 0xbf27a4f4, v27
	v_add_f32_e32 v6, v10, v6
	v_mul_f32_e32 v10, 0xbf4178ce, v11
	v_fma_f32 v9, v27, s4, -v9
	v_fma_f32 v23, v28, s4, -v10
	v_add_f32_e32 v5, v9, v5
	v_fmac_f32_e32 v10, 0xbf27a4f4, v28
	v_mul_f32_e32 v9, 0x3f7d64f0, v12
	v_add_f32_e32 v7, v10, v7
	v_mov_b32_e32 v10, v9
	v_fmac_f32_e32 v10, 0xbe11bafb, v27
	v_add_f32_e32 v10, v10, v14
	v_mul_f32_e32 v14, 0x3f7d64f0, v11
	v_add_f32_e32 v20, v23, v20
	v_fma_f32 v23, v28, s0, -v14
	v_fma_f32 v9, v27, s0, -v9
	v_fmac_f32_e32 v14, 0xbe11bafb, v28
	v_add_f32_e32 v8, v9, v8
	v_add_f32_e32 v9, v14, v16
	v_mul_f32_e32 v14, 0xbf0a6770, v12
	v_mov_b32_e32 v16, v14
	v_fmac_f32_e32 v16, 0x3f575c64, v27
	v_add_f32_e32 v16, v16, v22
	v_mul_f32_e32 v22, 0xbf0a6770, v11
	v_add_f32_e32 v21, v23, v21
	v_fma_f32 v23, v28, s1, -v22
	v_fma_f32 v14, v27, s1, -v14
	v_fmac_f32_e32 v22, 0x3f575c64, v28
	v_add_f32_e32 v34, v34, v40
	v_add_f32_e32 v14, v14, v19
	;; [unrolled: 1-line block ×3, first 2 shown]
	v_mul_f32_e32 v22, 0xbe903f40, v12
	v_mul_f32_e32 v31, 0xbe903f40, v11
	;; [unrolled: 1-line block ×3, first 2 shown]
	v_add_f32_e32 v23, v23, v34
	v_mov_b32_e32 v24, v22
	v_fma_f32 v22, v27, s6, -v22
	v_mul_f32_e32 v12, 0x3f68dda4, v12
	v_fma_f32 v34, v28, s5, -v11
	v_fmac_f32_e32 v11, 0x3ed4b147, v28
	v_add_f32_e32 v22, v22, v32
	v_mov_b32_e32 v32, v12
	v_fma_f32 v12, v27, s5, -v12
	v_add_f32_e32 v4, v11, v4
	v_mul_f32_e32 v11, 0xbe903f40, v18
	v_add_f32_e32 v3, v12, v3
	v_mov_b32_e32 v12, v11
	v_fmac_f32_e32 v12, 0xbf75a155, v29
	v_add_f32_e32 v6, v12, v6
	v_mul_f32_e32 v12, 0xbe903f40, v17
	v_fmac_f32_e32 v24, 0xbf75a155, v27
	v_fmac_f32_e32 v32, 0x3ed4b147, v27
	v_fma_f32 v27, v30, s6, -v12
	v_fmac_f32_e32 v12, 0xbf75a155, v30
	v_add_f32_e32 v20, v27, v20
	v_fma_f32 v11, v29, s6, -v11
	v_add_f32_e32 v27, v12, v7
	v_mul_f32_e32 v7, 0x3f0a6770, v18
	v_add_f32_e32 v5, v11, v5
	v_mov_b32_e32 v11, v7
	v_fmac_f32_e32 v11, 0x3f575c64, v29
	v_add_f32_e32 v10, v11, v10
	v_mul_f32_e32 v11, 0x3f0a6770, v17
	v_fma_f32 v12, v30, s1, -v11
	v_fma_f32 v7, v29, s1, -v7
	v_fmac_f32_e32 v11, 0x3f575c64, v30
	v_add_f32_e32 v24, v24, v33
	v_fma_f32 v33, v28, s6, -v31
	v_fmac_f32_e32 v31, 0xbf75a155, v28
	v_add_f32_e32 v7, v7, v8
	v_add_f32_e32 v28, v11, v9
	v_mul_f32_e32 v8, 0xbf4178ce, v18
	v_mul_f32_e32 v11, 0xbf4178ce, v17
	v_add_f32_e32 v21, v12, v21
	v_mov_b32_e32 v9, v8
	v_fma_f32 v12, v30, s4, -v11
	v_fma_f32 v8, v29, s4, -v8
	v_fmac_f32_e32 v11, 0xbf27a4f4, v30
	v_fmac_f32_e32 v9, 0xbf27a4f4, v29
	v_add_f32_e32 v8, v8, v14
	v_add_f32_e32 v19, v11, v19
	v_mul_f32_e32 v11, 0x3f68dda4, v18
	v_mul_f32_e32 v14, 0x3f68dda4, v17
	v_add_f32_e32 v31, v31, v35
	v_add_f32_e32 v9, v9, v16
	;; [unrolled: 1-line block ×3, first 2 shown]
	v_mov_b32_e32 v12, v11
	v_fma_f32 v23, v30, s5, -v14
	v_fma_f32 v11, v29, s5, -v11
	v_fmac_f32_e32 v14, 0x3ed4b147, v30
	v_add_f32_e32 v11, v11, v22
	v_add_f32_e32 v22, v14, v31
	v_mul_f32_e32 v14, 0xbf7d64f0, v18
	v_mul_u32_u24_e32 v2, 0x79, v2
	v_mov_b32_e32 v18, v14
	v_lshl_add_u32 v2, v2, 2, 0
	v_add_f32_e32 v32, v32, v36
	v_fmac_f32_e32 v12, 0x3ed4b147, v29
	v_fmac_f32_e32 v18, 0xbe11bafb, v29
	v_mul_f32_e32 v17, 0xbf7d64f0, v17
	v_fma_f32 v14, v29, s0, -v14
	v_mad_u32_u24 v29, v26, 44, v2
	s_movk_i32 s7, 0xffd8
	v_add_f32_e32 v12, v12, v24
	v_add_f32_e32 v18, v18, v32
	v_fma_f32 v24, v30, s0, -v17
	v_add_f32_e32 v3, v14, v3
	v_fmac_f32_e32 v17, 0xbe11bafb, v30
	ds_write2_b32 v29, v13, v6 offset1:1
	ds_write2_b32 v29, v10, v9 offset0:2 offset1:3
	ds_write2_b32 v29, v12, v18 offset0:4 offset1:5
	;; [unrolled: 1-line block ×4, first 2 shown]
	ds_write_b32 v29, v5 offset:40
	v_lshl_add_u32 v13, v26, 2, v2
	v_mad_i32_i24 v14, v26, s7, v29
	v_add_f32_e32 v17, v17, v4
	s_waitcnt lgkmcnt(0)
	s_barrier
	ds_read_b32 v12, v13
	ds_read2_b32 v[8:9], v14 offset0:11 offset1:22
	ds_read2_b32 v[6:7], v14 offset0:33 offset1:44
	;; [unrolled: 1-line block ×5, first 2 shown]
	v_add_f32_e32 v42, v45, v42
	v_add_f32_e32 v41, v41, v44
	;; [unrolled: 1-line block ×8, first 2 shown]
	s_waitcnt lgkmcnt(0)
	s_barrier
	ds_write2_b32 v29, v15, v20 offset1:1
	ds_write2_b32 v29, v21, v16 offset0:2 offset1:3
	ds_write2_b32 v29, v23, v24 offset0:4 offset1:5
	;; [unrolled: 1-line block ×4, first 2 shown]
	ds_write_b32 v29, v27 offset:40
	s_waitcnt lgkmcnt(0)
	s_barrier
	s_and_saveexec_b64 s[10:11], vcc
	s_cbranch_execz .LBB0_12
; %bb.11:
	v_mul_u32_u24_e32 v15, 10, v26
	v_lshlrev_b32_e32 v23, 3, v15
	global_load_dwordx4 v[15:18], v23, s[8:9]
	global_load_dwordx4 v[19:22], v23, s[8:9] offset:64
	global_load_dwordx4 v[26:29], v23, s[8:9] offset:48
	;; [unrolled: 1-line block ×4, first 2 shown]
	ds_read2_b32 v[23:24], v14 offset0:11 offset1:22
	ds_read2_b32 v[38:39], v14 offset0:99 offset1:110
	ds_read_b32 v13, v13
	ds_read2_b32 v[40:41], v14 offset0:77 offset1:88
	ds_read2_b32 v[42:43], v14 offset0:33 offset1:44
	;; [unrolled: 1-line block ×3, first 2 shown]
	s_waitcnt vmcnt(4)
	v_mul_f32_e32 v14, v8, v16
	s_waitcnt lgkmcnt(5)
	v_mul_f32_e32 v16, v23, v16
	s_waitcnt vmcnt(3)
	v_mul_f32_e32 v47, v11, v22
	v_mul_f32_e32 v46, v9, v18
	;; [unrolled: 1-line block ×4, first 2 shown]
	s_waitcnt lgkmcnt(4)
	v_mul_f32_e32 v20, v38, v20
	s_waitcnt vmcnt(2)
	v_mul_f32_e32 v49, v5, v29
	v_fma_f32 v14, v23, v15, -v14
	v_fmac_f32_e32 v16, v8, v15
	v_fma_f32 v15, v39, v21, -v47
	v_mul_f32_e32 v22, v39, v22
	s_waitcnt vmcnt(1)
	v_mul_f32_e32 v50, v6, v31
	s_waitcnt lgkmcnt(2)
	v_mul_f32_e32 v29, v41, v29
	v_mul_f32_e32 v52, v7, v33
	v_fma_f32 v23, v24, v17, -v46
	v_fmac_f32_e32 v18, v9, v17
	v_fma_f32 v17, v38, v19, -v48
	v_fmac_f32_e32 v20, v10, v19
	v_fma_f32 v24, v41, v28, -v49
	v_add_f32_e32 v10, v15, v14
	v_sub_f32_e32 v41, v14, v15
	v_mul_f32_e32 v51, v4, v27
	s_waitcnt lgkmcnt(1)
	v_mul_f32_e32 v33, v43, v33
	v_mul_f32_e32 v27, v40, v27
	s_waitcnt vmcnt(0)
	v_mul_f32_e32 v54, v2, v35
	s_waitcnt lgkmcnt(0)
	v_mul_f32_e32 v35, v44, v35
	v_fmac_f32_e32 v22, v11, v21
	v_fma_f32 v19, v42, v30, -v50
	v_fma_f32 v21, v43, v32, -v52
	v_add_f32_e32 v11, v17, v23
	v_sub_f32_e32 v43, v23, v17
	v_mul_f32_e32 v47, 0xbf75a155, v10
	v_mul_f32_e32 v50, 0xbe903f40, v41
	;; [unrolled: 1-line block ×5, first 2 shown]
	v_fmac_f32_e32 v33, v7, v32
	v_fmac_f32_e32 v29, v5, v28
	v_fma_f32 v28, v40, v26, -v51
	v_fmac_f32_e32 v27, v4, v26
	v_fmac_f32_e32 v35, v2, v34
	v_sub_f32_e32 v32, v16, v22
	v_add_f32_e32 v40, v22, v16
	v_mul_f32_e32 v48, 0x3f575c64, v11
	v_mul_f32_e32 v51, 0x3f0a6770, v43
	v_mov_b32_e32 v2, v47
	v_mov_b32_e32 v4, v50
	v_fmac_f32_e32 v31, v6, v30
	v_fma_f32 v30, v44, v34, -v54
	v_fmac_f32_e32 v37, v3, v36
	v_sub_f32_e32 v34, v18, v20
	v_add_f32_e32 v42, v20, v18
	v_sub_f32_e32 v46, v19, v24
	v_mov_b32_e32 v3, v48
	v_mov_b32_e32 v5, v51
	v_fmac_f32_e32 v2, 0x3e903f40, v32
	v_fmac_f32_e32 v4, 0xbf75a155, v40
	v_fma_f32 v26, v45, v36, -v53
	v_mul_f32_e32 v53, 0xbf4178ce, v46
	v_fmac_f32_e32 v3, 0xbf0a6770, v34
	v_fmac_f32_e32 v5, 0x3f575c64, v42
	v_add_f32_e32 v2, v13, v2
	v_add_f32_e32 v4, v12, v4
	;; [unrolled: 1-line block ×6, first 2 shown]
	v_mov_b32_e32 v4, v53
	v_sub_f32_e32 v55, v21, v28
	v_add_f32_e32 v39, v28, v21
	v_mul_f32_e32 v49, 0xbf27a4f4, v36
	v_fmac_f32_e32 v4, 0xbf27a4f4, v45
	v_mul_f32_e32 v56, 0x3f68dda4, v55
	v_sub_f32_e32 v38, v31, v29
	v_mul_f32_e32 v52, 0x3ed4b147, v39
	v_mov_b32_e32 v6, v49
	v_add_f32_e32 v3, v3, v4
	v_add_f32_e32 v54, v27, v33
	v_mov_b32_e32 v4, v56
	v_add_f32_e32 v57, v26, v30
	v_sub_f32_e32 v44, v33, v27
	v_mov_b32_e32 v7, v52
	v_fmac_f32_e32 v6, 0x3f4178ce, v38
	v_fmac_f32_e32 v4, 0x3ed4b147, v54
	v_mul_f32_e32 v58, 0xbe11bafb, v57
	v_fmac_f32_e32 v7, 0xbf68dda4, v44
	v_add_f32_e32 v2, v2, v6
	v_add_f32_e32 v4, v3, v4
	v_sub_f32_e32 v59, v35, v37
	v_mov_b32_e32 v3, v58
	v_sub_f32_e32 v61, v30, v26
	v_add_f32_e32 v2, v2, v7
	v_fmac_f32_e32 v3, 0x3f7d64f0, v59
	v_mul_f32_e32 v62, 0xbf7d64f0, v61
	v_add_f32_e32 v3, v2, v3
	v_add_f32_e32 v60, v37, v35
	v_mov_b32_e32 v2, v62
	v_fmac_f32_e32 v2, 0xbe11bafb, v60
	v_mul_f32_e32 v63, 0xbf27a4f4, v10
	v_add_f32_e32 v2, v4, v2
	v_mov_b32_e32 v4, v63
	v_mul_f32_e32 v64, 0xbe11bafb, v11
	v_fmac_f32_e32 v4, 0x3f4178ce, v32
	v_mov_b32_e32 v5, v64
	v_add_f32_e32 v4, v13, v4
	v_fmac_f32_e32 v5, 0xbf7d64f0, v34
	v_mul_f32_e32 v65, 0x3f575c64, v36
	v_add_f32_e32 v4, v4, v5
	v_mov_b32_e32 v5, v65
	v_fmac_f32_e32 v5, 0x3f0a6770, v38
	v_mul_f32_e32 v66, 0xbf75a155, v39
	v_add_f32_e32 v4, v4, v5
	v_mov_b32_e32 v5, v66
	;; [unrolled: 4-line block ×3, first 2 shown]
	v_mul_f32_e32 v68, 0x3f7d64f0, v43
	v_fmac_f32_e32 v5, 0xbf27a4f4, v40
	v_mov_b32_e32 v6, v68
	v_add_f32_e32 v5, v12, v5
	v_fmac_f32_e32 v6, 0xbe11bafb, v42
	v_mul_f32_e32 v69, 0xbf0a6770, v46
	v_add_f32_e32 v5, v5, v6
	v_mov_b32_e32 v6, v69
	v_fmac_f32_e32 v6, 0x3f575c64, v45
	v_mul_f32_e32 v70, 0xbe903f40, v55
	v_add_f32_e32 v5, v5, v6
	v_mov_b32_e32 v6, v70
	;; [unrolled: 4-line block ×5, first 2 shown]
	v_mul_f32_e32 v74, 0xbf75a155, v11
	v_fmac_f32_e32 v6, 0x3f7d64f0, v32
	v_mov_b32_e32 v7, v74
	v_add_f32_e32 v6, v13, v6
	v_fmac_f32_e32 v7, 0xbe903f40, v34
	v_mul_f32_e32 v75, 0x3ed4b147, v36
	v_add_f32_e32 v6, v6, v7
	v_mov_b32_e32 v7, v75
	v_fmac_f32_e32 v7, 0xbf68dda4, v38
	v_mul_f32_e32 v76, 0x3f575c64, v39
	v_add_f32_e32 v6, v6, v7
	v_mov_b32_e32 v7, v76
	;; [unrolled: 4-line block ×3, first 2 shown]
	v_mul_f32_e32 v78, 0x3e903f40, v43
	v_fmac_f32_e32 v7, 0xbe11bafb, v40
	v_mov_b32_e32 v8, v78
	v_add_f32_e32 v7, v12, v7
	v_fmac_f32_e32 v8, 0xbf75a155, v42
	v_mul_f32_e32 v79, 0x3f68dda4, v46
	v_add_f32_e32 v7, v7, v8
	v_mov_b32_e32 v8, v79
	v_fmac_f32_e32 v8, 0x3ed4b147, v45
	v_mul_f32_e32 v80, 0xbf0a6770, v55
	v_add_f32_e32 v7, v7, v8
	v_mov_b32_e32 v8, v80
	;; [unrolled: 4-line block ×5, first 2 shown]
	v_mul_f32_e32 v84, 0xbf27a4f4, v11
	v_fmac_f32_e32 v8, 0x3f68dda4, v32
	v_mov_b32_e32 v9, v84
	v_add_f32_e32 v8, v13, v8
	v_fmac_f32_e32 v9, 0x3f4178ce, v34
	v_mul_f32_e32 v85, 0xbf75a155, v36
	v_add_f32_e32 v8, v8, v9
	v_mov_b32_e32 v9, v85
	v_fmac_f32_e32 v9, 0xbe903f40, v38
	v_mul_f32_e32 v86, 0xbe11bafb, v39
	v_add_f32_e32 v14, v13, v14
	v_add_f32_e32 v16, v12, v16
	;; [unrolled: 1-line block ×3, first 2 shown]
	v_mov_b32_e32 v9, v86
	v_add_f32_e32 v14, v14, v23
	v_add_f32_e32 v16, v16, v18
	v_fmac_f32_e32 v9, 0xbf7d64f0, v44
	v_mul_f32_e32 v87, 0xbf68dda4, v41
	v_add_f32_e32 v14, v14, v19
	v_add_f32_e32 v16, v16, v31
	;; [unrolled: 1-line block ×3, first 2 shown]
	v_mov_b32_e32 v9, v87
	v_mul_f32_e32 v88, 0xbf4178ce, v43
	v_add_f32_e32 v14, v14, v21
	v_add_f32_e32 v16, v16, v33
	v_fmac_f32_e32 v9, 0x3ed4b147, v40
	v_mov_b32_e32 v89, v88
	v_add_f32_e32 v14, v14, v30
	v_add_f32_e32 v16, v16, v35
	;; [unrolled: 1-line block ×3, first 2 shown]
	v_fmac_f32_e32 v89, 0xbf27a4f4, v42
	v_add_f32_e32 v14, v26, v14
	v_add_f32_e32 v16, v37, v16
	;; [unrolled: 1-line block ×3, first 2 shown]
	v_mul_f32_e32 v89, 0x3e903f40, v46
	v_add_f32_e32 v14, v28, v14
	v_add_f32_e32 v16, v27, v16
	v_mov_b32_e32 v90, v89
	v_add_f32_e32 v14, v24, v14
	v_add_f32_e32 v16, v29, v16
	v_fmac_f32_e32 v90, 0xbf75a155, v45
	v_add_f32_e32 v14, v17, v14
	v_add_f32_e32 v16, v20, v16
	v_fmac_f32_e32 v47, 0xbe903f40, v32
	v_add_f32_e32 v9, v9, v90
	v_mul_f32_e32 v90, 0x3f7d64f0, v55
	v_add_f32_e32 v15, v15, v14
	v_add_f32_e32 v14, v22, v16
	;; [unrolled: 1-line block ×3, first 2 shown]
	v_fmac_f32_e32 v48, 0x3f0a6770, v34
	v_fma_f32 v17, v40, s6, -v50
	v_mov_b32_e32 v91, v90
	v_add_f32_e32 v16, v16, v48
	v_fmac_f32_e32 v49, 0xbf4178ce, v38
	v_add_f32_e32 v17, v12, v17
	v_fma_f32 v18, v42, s1, -v51
	v_fmac_f32_e32 v91, 0xbe11bafb, v54
	v_mul_f32_e32 v92, 0x3f575c64, v57
	v_add_f32_e32 v16, v16, v49
	v_fmac_f32_e32 v52, 0x3f68dda4, v44
	v_add_f32_e32 v17, v17, v18
	v_fma_f32 v18, v45, s4, -v53
	v_add_f32_e32 v91, v9, v91
	v_mov_b32_e32 v9, v92
	v_add_f32_e32 v16, v16, v52
	v_add_f32_e32 v17, v17, v18
	v_fma_f32 v18, v54, s5, -v56
	v_fmac_f32_e32 v58, 0xbf7d64f0, v59
	v_fmac_f32_e32 v9, 0xbf0a6770, v59
	v_mul_f32_e32 v93, 0x3f0a6770, v61
	v_add_f32_e32 v18, v17, v18
	v_add_f32_e32 v17, v16, v58
	v_fma_f32 v16, v60, s0, -v62
	v_fmac_f32_e32 v63, 0xbf4178ce, v32
	v_add_f32_e32 v9, v8, v9
	v_mov_b32_e32 v8, v93
	v_add_f32_e32 v16, v18, v16
	v_add_f32_e32 v18, v13, v63
	v_fmac_f32_e32 v64, 0x3f7d64f0, v34
	v_fma_f32 v19, v40, s4, -v67
	v_fmac_f32_e32 v8, 0x3f575c64, v60
	v_add_f32_e32 v18, v18, v64
	v_fmac_f32_e32 v65, 0xbf0a6770, v38
	v_add_f32_e32 v19, v12, v19
	v_fma_f32 v20, v42, s0, -v68
	v_add_f32_e32 v8, v91, v8
	v_mul_f32_e32 v91, 0x3f575c64, v10
	v_add_f32_e32 v18, v18, v65
	v_fmac_f32_e32 v66, 0xbe903f40, v44
	v_add_f32_e32 v19, v19, v20
	v_fma_f32 v20, v45, s1, -v69
	v_mov_b32_e32 v10, v91
	v_mul_f32_e32 v94, 0x3ed4b147, v11
	v_add_f32_e32 v18, v18, v66
	v_add_f32_e32 v19, v19, v20
	v_fma_f32 v20, v54, s6, -v70
	v_fmac_f32_e32 v71, 0x3f68dda4, v59
	v_fmac_f32_e32 v10, 0x3f0a6770, v32
	v_mov_b32_e32 v11, v94
	v_add_f32_e32 v20, v19, v20
	v_add_f32_e32 v19, v18, v71
	v_fma_f32 v18, v60, s5, -v72
	v_fmac_f32_e32 v73, 0xbf7d64f0, v32
	v_add_f32_e32 v10, v13, v10
	v_fmac_f32_e32 v11, 0x3f68dda4, v34
	v_mul_f32_e32 v36, 0xbe11bafb, v36
	v_add_f32_e32 v18, v20, v18
	v_add_f32_e32 v20, v13, v73
	v_fmac_f32_e32 v74, 0x3e903f40, v34
	v_fma_f32 v21, v40, s0, -v77
	v_add_f32_e32 v10, v10, v11
	v_mov_b32_e32 v11, v36
	v_add_f32_e32 v20, v20, v74
	v_fmac_f32_e32 v75, 0x3f68dda4, v38
	v_add_f32_e32 v21, v12, v21
	v_fma_f32 v22, v42, s6, -v78
	v_fmac_f32_e32 v11, 0x3f7d64f0, v38
	v_mul_f32_e32 v39, 0xbf27a4f4, v39
	v_add_f32_e32 v20, v20, v75
	v_fmac_f32_e32 v76, 0xbf0a6770, v44
	v_add_f32_e32 v21, v21, v22
	v_fma_f32 v22, v45, s5, -v79
	v_add_f32_e32 v10, v10, v11
	v_mov_b32_e32 v11, v39
	v_add_f32_e32 v20, v20, v76
	v_add_f32_e32 v21, v21, v22
	v_fma_f32 v22, v54, s1, -v80
	v_fmac_f32_e32 v81, 0xbf4178ce, v59
	v_fmac_f32_e32 v11, 0x3f4178ce, v44
	v_mul_f32_e32 v41, 0xbf0a6770, v41
	v_add_f32_e32 v22, v21, v22
	v_add_f32_e32 v21, v20, v81
	v_fma_f32 v20, v60, s4, -v82
	v_fmac_f32_e32 v83, 0xbf68dda4, v32
	v_add_f32_e32 v10, v10, v11
	v_mov_b32_e32 v11, v41
	v_mul_f32_e32 v43, 0xbf68dda4, v43
	v_add_f32_e32 v20, v22, v20
	v_add_f32_e32 v22, v13, v83
	v_fmac_f32_e32 v84, 0xbf4178ce, v34
	v_fma_f32 v23, v40, s5, -v87
	v_fmac_f32_e32 v11, 0x3f575c64, v40
	v_mov_b32_e32 v95, v43
	v_add_f32_e32 v22, v22, v84
	v_fmac_f32_e32 v85, 0x3e903f40, v38
	v_add_f32_e32 v23, v12, v23
	v_fma_f32 v24, v42, s4, -v88
	v_add_f32_e32 v11, v12, v11
	v_fmac_f32_e32 v95, 0x3ed4b147, v42
	v_mul_f32_e32 v46, 0xbf7d64f0, v46
	v_add_f32_e32 v22, v22, v85
	v_fmac_f32_e32 v86, 0x3f7d64f0, v44
	v_add_f32_e32 v23, v23, v24
	v_fma_f32 v24, v45, s6, -v89
	v_add_f32_e32 v11, v11, v95
	v_mov_b32_e32 v95, v46
	v_add_f32_e32 v22, v22, v86
	v_add_f32_e32 v23, v23, v24
	v_fma_f32 v24, v54, s0, -v90
	v_fmac_f32_e32 v92, 0x3f0a6770, v59
	v_fmac_f32_e32 v91, 0xbf0a6770, v32
	;; [unrolled: 1-line block ×3, first 2 shown]
	v_mul_f32_e32 v55, 0xbf4178ce, v55
	v_add_f32_e32 v24, v23, v24
	v_add_f32_e32 v23, v22, v92
	v_fma_f32 v22, v60, s1, -v93
	v_add_f32_e32 v13, v13, v91
	v_fmac_f32_e32 v94, 0xbf68dda4, v34
	v_mad_u64_u32 v[26:27], s[8:9], s2, v25, 0
	v_add_f32_e32 v11, v11, v95
	v_mov_b32_e32 v95, v55
	v_add_f32_e32 v22, v24, v22
	v_add_f32_e32 v13, v13, v94
	v_fmac_f32_e32 v36, 0xbf7d64f0, v38
	v_fma_f32 v24, v40, s1, -v41
	v_fmac_f32_e32 v95, 0xbf27a4f4, v54
	v_mul_f32_e32 v57, 0xbf75a155, v57
	v_add_f32_e32 v13, v13, v36
	v_fmac_f32_e32 v39, 0xbf4178ce, v44
	v_add_f32_e32 v12, v12, v24
	v_fma_f32 v24, v42, s5, -v43
	v_add_f32_e32 v95, v11, v95
	v_mov_b32_e32 v11, v57
	v_add_f32_e32 v13, v13, v39
	v_fmac_f32_e32 v57, 0xbe903f40, v59
	v_add_f32_e32 v12, v12, v24
	v_fma_f32 v24, v45, s0, -v46
	v_add_f32_e32 v13, v13, v57
	v_add_f32_e32 v24, v12, v24
	v_mov_b32_e32 v12, v27
	v_mad_u64_u32 v[27:28], s[0:1], s3, v25, v[12:13]
	v_mul_f32_e32 v61, 0xbe903f40, v61
	v_fma_f32 v29, v54, s4, -v55
	v_add_f32_e32 v12, v24, v29
	v_fma_f32 v24, v60, s6, -v61
	v_add_f32_e32 v12, v12, v24
	v_mov_b32_e32 v24, s13
	v_add_co_u32_e32 v30, vcc, s12, v0
	v_add_u32_e32 v28, 11, v25
	v_addc_co_u32_e32 v31, vcc, v24, v1, vcc
	v_lshlrev_b64 v[0:1], 3, v[26:27]
	v_mad_u64_u32 v[26:27], s[0:1], s2, v28, 0
	v_add_co_u32_e32 v0, vcc, v30, v0
	v_mov_b32_e32 v24, v27
	v_mad_u64_u32 v[27:28], s[0:1], s3, v28, v[24:25]
	v_add_u32_e32 v24, 22, v25
	v_mad_u64_u32 v[28:29], s[0:1], s2, v24, 0
	v_addc_co_u32_e32 v1, vcc, v31, v1, vcc
	global_store_dwordx2 v[0:1], v[14:15], off
	v_mov_b32_e32 v14, v29
	v_mad_u64_u32 v[14:15], s[0:1], s3, v24, v[14:15]
	v_fmac_f32_e32 v11, 0x3e903f40, v59
	v_lshlrev_b64 v[0:1], 3, v[26:27]
	v_add_f32_e32 v11, v10, v11
	v_mov_b32_e32 v10, v61
	v_fmac_f32_e32 v10, 0xbf75a155, v60
	v_add_co_u32_e32 v0, vcc, v30, v0
	v_add_f32_e32 v10, v95, v10
	v_addc_co_u32_e32 v1, vcc, v31, v1, vcc
	v_mov_b32_e32 v29, v14
	v_add_u32_e32 v14, 33, v25
	global_store_dwordx2 v[0:1], v[10:11], off
	v_mad_u64_u32 v[10:11], s[0:1], s2, v14, 0
	v_lshlrev_b64 v[0:1], 3, v[28:29]
	v_mad_u64_u32 v[14:15], s[0:1], s3, v14, v[11:12]
	v_add_u32_e32 v15, 44, v25
	v_mad_u64_u32 v[26:27], s[0:1], s2, v15, 0
	v_add_co_u32_e32 v0, vcc, v30, v0
	v_addc_co_u32_e32 v1, vcc, v31, v1, vcc
	global_store_dwordx2 v[0:1], v[8:9], off
	v_mov_b32_e32 v8, v27
	v_mov_b32_e32 v11, v14
	v_mad_u64_u32 v[8:9], s[0:1], s3, v15, v[8:9]
	v_lshlrev_b64 v[0:1], 3, v[10:11]
	v_add_u32_e32 v10, 0x42, v25
	v_add_co_u32_e32 v0, vcc, v30, v0
	v_addc_co_u32_e32 v1, vcc, v31, v1, vcc
	v_mov_b32_e32 v27, v8
	v_add_u32_e32 v8, 55, v25
	global_store_dwordx2 v[0:1], v[6:7], off
	v_mad_u64_u32 v[6:7], s[0:1], s2, v8, 0
	v_lshlrev_b64 v[0:1], 3, v[26:27]
	v_mad_u64_u32 v[7:8], s[0:1], s3, v8, v[7:8]
	v_mad_u64_u32 v[8:9], s[0:1], s2, v10, 0
	v_add_co_u32_e32 v0, vcc, v30, v0
	v_addc_co_u32_e32 v1, vcc, v31, v1, vcc
	global_store_dwordx2 v[0:1], v[4:5], off
	v_mov_b32_e32 v4, v9
	v_mad_u64_u32 v[4:5], s[0:1], s3, v10, v[4:5]
	v_lshlrev_b64 v[0:1], 3, v[6:7]
	v_add_u32_e32 v6, 0x58, v25
	v_add_co_u32_e32 v0, vcc, v30, v0
	v_addc_co_u32_e32 v1, vcc, v31, v1, vcc
	v_mov_b32_e32 v9, v4
	v_add_u32_e32 v4, 0x4d, v25
	global_store_dwordx2 v[0:1], v[2:3], off
	v_mad_u64_u32 v[2:3], s[0:1], s2, v4, 0
	v_lshlrev_b64 v[0:1], 3, v[8:9]
	v_mad_u64_u32 v[3:4], s[0:1], s3, v4, v[3:4]
	v_mad_u64_u32 v[4:5], s[0:1], s2, v6, 0
	v_add_co_u32_e32 v0, vcc, v30, v0
	v_addc_co_u32_e32 v1, vcc, v31, v1, vcc
	global_store_dwordx2 v[0:1], v[16:17], off
	v_lshlrev_b64 v[0:1], 3, v[2:3]
	v_mov_b32_e32 v2, v5
	v_mad_u64_u32 v[2:3], s[0:1], s3, v6, v[2:3]
	v_add_co_u32_e32 v0, vcc, v30, v0
	v_addc_co_u32_e32 v1, vcc, v31, v1, vcc
	v_mov_b32_e32 v5, v2
	global_store_dwordx2 v[0:1], v[18:19], off
	v_lshlrev_b64 v[0:1], 3, v[4:5]
	v_add_u32_e32 v4, 0x63, v25
	v_mad_u64_u32 v[2:3], s[0:1], s2, v4, 0
	v_add_u32_e32 v6, 0x6e, v25
	v_add_co_u32_e32 v0, vcc, v30, v0
	v_mad_u64_u32 v[3:4], s[0:1], s3, v4, v[3:4]
	v_mad_u64_u32 v[4:5], s[0:1], s2, v6, 0
	v_addc_co_u32_e32 v1, vcc, v31, v1, vcc
	global_store_dwordx2 v[0:1], v[20:21], off
	v_lshlrev_b64 v[0:1], 3, v[2:3]
	v_mov_b32_e32 v2, v5
	v_mad_u64_u32 v[2:3], s[0:1], s3, v6, v[2:3]
	v_add_co_u32_e32 v0, vcc, v30, v0
	v_addc_co_u32_e32 v1, vcc, v31, v1, vcc
	v_mov_b32_e32 v5, v2
	global_store_dwordx2 v[0:1], v[22:23], off
	v_lshlrev_b64 v[0:1], 3, v[4:5]
	v_add_co_u32_e32 v0, vcc, v30, v0
	v_addc_co_u32_e32 v1, vcc, v31, v1, vcc
	global_store_dwordx2 v[0:1], v[12:13], off
.LBB0_12:
	s_endpgm
	.section	.rodata,"a",@progbits
	.p2align	6, 0x0
	.amdhsa_kernel fft_rtc_back_len121_factors_11_11_wgs_121_tpt_11_halfLds_sp_ip_CI_sbrr_dirReg
		.amdhsa_group_segment_fixed_size 0
		.amdhsa_private_segment_fixed_size 0
		.amdhsa_kernarg_size 88
		.amdhsa_user_sgpr_count 6
		.amdhsa_user_sgpr_private_segment_buffer 1
		.amdhsa_user_sgpr_dispatch_ptr 0
		.amdhsa_user_sgpr_queue_ptr 0
		.amdhsa_user_sgpr_kernarg_segment_ptr 1
		.amdhsa_user_sgpr_dispatch_id 0
		.amdhsa_user_sgpr_flat_scratch_init 0
		.amdhsa_user_sgpr_private_segment_size 0
		.amdhsa_uses_dynamic_stack 0
		.amdhsa_system_sgpr_private_segment_wavefront_offset 0
		.amdhsa_system_sgpr_workgroup_id_x 1
		.amdhsa_system_sgpr_workgroup_id_y 0
		.amdhsa_system_sgpr_workgroup_id_z 0
		.amdhsa_system_sgpr_workgroup_info 0
		.amdhsa_system_vgpr_workitem_id 0
		.amdhsa_next_free_vgpr 96
		.amdhsa_next_free_sgpr 24
		.amdhsa_reserve_vcc 1
		.amdhsa_reserve_flat_scratch 0
		.amdhsa_float_round_mode_32 0
		.amdhsa_float_round_mode_16_64 0
		.amdhsa_float_denorm_mode_32 3
		.amdhsa_float_denorm_mode_16_64 3
		.amdhsa_dx10_clamp 1
		.amdhsa_ieee_mode 1
		.amdhsa_fp16_overflow 0
		.amdhsa_exception_fp_ieee_invalid_op 0
		.amdhsa_exception_fp_denorm_src 0
		.amdhsa_exception_fp_ieee_div_zero 0
		.amdhsa_exception_fp_ieee_overflow 0
		.amdhsa_exception_fp_ieee_underflow 0
		.amdhsa_exception_fp_ieee_inexact 0
		.amdhsa_exception_int_div_zero 0
	.end_amdhsa_kernel
	.text
.Lfunc_end0:
	.size	fft_rtc_back_len121_factors_11_11_wgs_121_tpt_11_halfLds_sp_ip_CI_sbrr_dirReg, .Lfunc_end0-fft_rtc_back_len121_factors_11_11_wgs_121_tpt_11_halfLds_sp_ip_CI_sbrr_dirReg
                                        ; -- End function
	.section	.AMDGPU.csdata,"",@progbits
; Kernel info:
; codeLenInByte = 6884
; NumSgprs: 28
; NumVgprs: 96
; ScratchSize: 0
; MemoryBound: 0
; FloatMode: 240
; IeeeMode: 1
; LDSByteSize: 0 bytes/workgroup (compile time only)
; SGPRBlocks: 3
; VGPRBlocks: 23
; NumSGPRsForWavesPerEU: 28
; NumVGPRsForWavesPerEU: 96
; Occupancy: 2
; WaveLimiterHint : 1
; COMPUTE_PGM_RSRC2:SCRATCH_EN: 0
; COMPUTE_PGM_RSRC2:USER_SGPR: 6
; COMPUTE_PGM_RSRC2:TRAP_HANDLER: 0
; COMPUTE_PGM_RSRC2:TGID_X_EN: 1
; COMPUTE_PGM_RSRC2:TGID_Y_EN: 0
; COMPUTE_PGM_RSRC2:TGID_Z_EN: 0
; COMPUTE_PGM_RSRC2:TIDIG_COMP_CNT: 0
	.type	__hip_cuid_15386a6472cc6a98,@object ; @__hip_cuid_15386a6472cc6a98
	.section	.bss,"aw",@nobits
	.globl	__hip_cuid_15386a6472cc6a98
__hip_cuid_15386a6472cc6a98:
	.byte	0                               ; 0x0
	.size	__hip_cuid_15386a6472cc6a98, 1

	.ident	"AMD clang version 19.0.0git (https://github.com/RadeonOpenCompute/llvm-project roc-6.4.0 25133 c7fe45cf4b819c5991fe208aaa96edf142730f1d)"
	.section	".note.GNU-stack","",@progbits
	.addrsig
	.addrsig_sym __hip_cuid_15386a6472cc6a98
	.amdgpu_metadata
---
amdhsa.kernels:
  - .args:
      - .actual_access:  read_only
        .address_space:  global
        .offset:         0
        .size:           8
        .value_kind:     global_buffer
      - .offset:         8
        .size:           8
        .value_kind:     by_value
      - .actual_access:  read_only
        .address_space:  global
        .offset:         16
        .size:           8
        .value_kind:     global_buffer
      - .actual_access:  read_only
        .address_space:  global
        .offset:         24
        .size:           8
        .value_kind:     global_buffer
      - .offset:         32
        .size:           8
        .value_kind:     by_value
      - .actual_access:  read_only
        .address_space:  global
        .offset:         40
        .size:           8
        .value_kind:     global_buffer
      - .actual_access:  read_only
        .address_space:  global
        .offset:         48
        .size:           8
        .value_kind:     global_buffer
      - .offset:         56
        .size:           4
        .value_kind:     by_value
      - .actual_access:  read_only
        .address_space:  global
        .offset:         64
        .size:           8
        .value_kind:     global_buffer
      - .actual_access:  read_only
        .address_space:  global
        .offset:         72
        .size:           8
        .value_kind:     global_buffer
      - .address_space:  global
        .offset:         80
        .size:           8
        .value_kind:     global_buffer
    .group_segment_fixed_size: 0
    .kernarg_segment_align: 8
    .kernarg_segment_size: 88
    .language:       OpenCL C
    .language_version:
      - 2
      - 0
    .max_flat_workgroup_size: 121
    .name:           fft_rtc_back_len121_factors_11_11_wgs_121_tpt_11_halfLds_sp_ip_CI_sbrr_dirReg
    .private_segment_fixed_size: 0
    .sgpr_count:     28
    .sgpr_spill_count: 0
    .symbol:         fft_rtc_back_len121_factors_11_11_wgs_121_tpt_11_halfLds_sp_ip_CI_sbrr_dirReg.kd
    .uniform_work_group_size: 1
    .uses_dynamic_stack: false
    .vgpr_count:     96
    .vgpr_spill_count: 0
    .wavefront_size: 64
amdhsa.target:   amdgcn-amd-amdhsa--gfx906
amdhsa.version:
  - 1
  - 2
...

	.end_amdgpu_metadata
